;; amdgpu-corpus repo=ROCm/rocFFT kind=compiled arch=gfx906 opt=O3
	.text
	.amdgcn_target "amdgcn-amd-amdhsa--gfx906"
	.amdhsa_code_object_version 6
	.protected	fft_rtc_back_len1500_factors_5_10_10_3_wgs_150_tpt_150_halfLds_half_op_CI_CI_unitstride_sbrr_dirReg ; -- Begin function fft_rtc_back_len1500_factors_5_10_10_3_wgs_150_tpt_150_halfLds_half_op_CI_CI_unitstride_sbrr_dirReg
	.globl	fft_rtc_back_len1500_factors_5_10_10_3_wgs_150_tpt_150_halfLds_half_op_CI_CI_unitstride_sbrr_dirReg
	.p2align	8
	.type	fft_rtc_back_len1500_factors_5_10_10_3_wgs_150_tpt_150_halfLds_half_op_CI_CI_unitstride_sbrr_dirReg,@function
fft_rtc_back_len1500_factors_5_10_10_3_wgs_150_tpt_150_halfLds_half_op_CI_CI_unitstride_sbrr_dirReg: ; @fft_rtc_back_len1500_factors_5_10_10_3_wgs_150_tpt_150_halfLds_half_op_CI_CI_unitstride_sbrr_dirReg
; %bb.0:
	s_load_dwordx4 s[12:15], s[4:5], 0x58
	s_load_dwordx4 s[8:11], s[4:5], 0x0
	;; [unrolled: 1-line block ×3, first 2 shown]
	v_mul_u32_u24_e32 v1, 0x1b5, v0
	v_mov_b32_e32 v7, 0
	v_mov_b32_e32 v5, 0
	s_waitcnt lgkmcnt(0)
	v_cmp_lt_u64_e64 s[0:1], s[10:11], 2
	v_add_u32_sdwa v9, s6, v1 dst_sel:DWORD dst_unused:UNUSED_PAD src0_sel:DWORD src1_sel:WORD_1
	v_mov_b32_e32 v10, v7
	s_and_b64 vcc, exec, s[0:1]
	v_mov_b32_e32 v6, 0
	s_cbranch_vccnz .LBB0_8
; %bb.1:
	s_load_dwordx2 s[0:1], s[4:5], 0x10
	s_add_u32 s2, s18, 8
	s_addc_u32 s3, s19, 0
	s_add_u32 s6, s16, 8
	s_addc_u32 s7, s17, 0
	v_mov_b32_e32 v5, 0
	s_waitcnt lgkmcnt(0)
	s_add_u32 s20, s0, 8
	v_mov_b32_e32 v6, 0
	v_mov_b32_e32 v1, v5
	s_addc_u32 s21, s1, 0
	s_mov_b64 s[22:23], 1
	v_mov_b32_e32 v2, v6
.LBB0_2:                                ; =>This Inner Loop Header: Depth=1
	s_load_dwordx2 s[24:25], s[20:21], 0x0
                                        ; implicit-def: $vgpr3_vgpr4
	s_waitcnt lgkmcnt(0)
	v_or_b32_e32 v8, s25, v10
	v_cmp_ne_u64_e32 vcc, 0, v[7:8]
	s_and_saveexec_b64 s[0:1], vcc
	s_xor_b64 s[26:27], exec, s[0:1]
	s_cbranch_execz .LBB0_4
; %bb.3:                                ;   in Loop: Header=BB0_2 Depth=1
	v_cvt_f32_u32_e32 v3, s24
	v_cvt_f32_u32_e32 v4, s25
	s_sub_u32 s0, 0, s24
	s_subb_u32 s1, 0, s25
	v_mac_f32_e32 v3, 0x4f800000, v4
	v_rcp_f32_e32 v3, v3
	v_mul_f32_e32 v3, 0x5f7ffffc, v3
	v_mul_f32_e32 v4, 0x2f800000, v3
	v_trunc_f32_e32 v4, v4
	v_mac_f32_e32 v3, 0xcf800000, v4
	v_cvt_u32_f32_e32 v4, v4
	v_cvt_u32_f32_e32 v3, v3
	v_mul_lo_u32 v8, s0, v4
	v_mul_hi_u32 v11, s0, v3
	v_mul_lo_u32 v13, s1, v3
	v_mul_lo_u32 v12, s0, v3
	v_add_u32_e32 v8, v11, v8
	v_add_u32_e32 v8, v8, v13
	v_mul_hi_u32 v11, v3, v12
	v_mul_lo_u32 v13, v3, v8
	v_mul_hi_u32 v15, v3, v8
	v_mul_hi_u32 v14, v4, v12
	v_mul_lo_u32 v12, v4, v12
	v_mul_hi_u32 v16, v4, v8
	v_add_co_u32_e32 v11, vcc, v11, v13
	v_addc_co_u32_e32 v13, vcc, 0, v15, vcc
	v_mul_lo_u32 v8, v4, v8
	v_add_co_u32_e32 v11, vcc, v11, v12
	v_addc_co_u32_e32 v11, vcc, v13, v14, vcc
	v_addc_co_u32_e32 v12, vcc, 0, v16, vcc
	v_add_co_u32_e32 v8, vcc, v11, v8
	v_addc_co_u32_e32 v11, vcc, 0, v12, vcc
	v_add_co_u32_e32 v3, vcc, v3, v8
	v_addc_co_u32_e32 v4, vcc, v4, v11, vcc
	v_mul_lo_u32 v8, s0, v4
	v_mul_hi_u32 v11, s0, v3
	v_mul_lo_u32 v12, s1, v3
	v_mul_lo_u32 v13, s0, v3
	v_add_u32_e32 v8, v11, v8
	v_add_u32_e32 v8, v8, v12
	v_mul_lo_u32 v14, v3, v8
	v_mul_hi_u32 v15, v3, v13
	v_mul_hi_u32 v16, v3, v8
	v_mul_hi_u32 v12, v4, v13
	v_mul_lo_u32 v13, v4, v13
	v_mul_hi_u32 v11, v4, v8
	v_add_co_u32_e32 v14, vcc, v15, v14
	v_addc_co_u32_e32 v15, vcc, 0, v16, vcc
	v_mul_lo_u32 v8, v4, v8
	v_add_co_u32_e32 v13, vcc, v14, v13
	v_addc_co_u32_e32 v12, vcc, v15, v12, vcc
	v_addc_co_u32_e32 v11, vcc, 0, v11, vcc
	v_add_co_u32_e32 v8, vcc, v12, v8
	v_addc_co_u32_e32 v11, vcc, 0, v11, vcc
	v_add_co_u32_e32 v8, vcc, v3, v8
	v_addc_co_u32_e32 v11, vcc, v4, v11, vcc
	v_mad_u64_u32 v[3:4], s[0:1], v9, v11, 0
	v_mul_hi_u32 v12, v9, v8
	v_add_co_u32_e32 v13, vcc, v12, v3
	v_addc_co_u32_e32 v14, vcc, 0, v4, vcc
	v_mad_u64_u32 v[3:4], s[0:1], v10, v8, 0
	v_mad_u64_u32 v[11:12], s[0:1], v10, v11, 0
	v_add_co_u32_e32 v3, vcc, v13, v3
	v_addc_co_u32_e32 v3, vcc, v14, v4, vcc
	v_addc_co_u32_e32 v4, vcc, 0, v12, vcc
	v_add_co_u32_e32 v8, vcc, v3, v11
	v_addc_co_u32_e32 v11, vcc, 0, v4, vcc
	v_mul_lo_u32 v12, s25, v8
	v_mul_lo_u32 v13, s24, v11
	v_mad_u64_u32 v[3:4], s[0:1], s24, v8, 0
	v_add3_u32 v4, v4, v13, v12
	v_sub_u32_e32 v12, v10, v4
	v_mov_b32_e32 v13, s25
	v_sub_co_u32_e32 v3, vcc, v9, v3
	v_subb_co_u32_e64 v12, s[0:1], v12, v13, vcc
	v_subrev_co_u32_e64 v13, s[0:1], s24, v3
	v_subbrev_co_u32_e64 v12, s[0:1], 0, v12, s[0:1]
	v_cmp_le_u32_e64 s[0:1], s25, v12
	v_cndmask_b32_e64 v14, 0, -1, s[0:1]
	v_cmp_le_u32_e64 s[0:1], s24, v13
	v_cndmask_b32_e64 v13, 0, -1, s[0:1]
	v_cmp_eq_u32_e64 s[0:1], s25, v12
	v_cndmask_b32_e64 v12, v14, v13, s[0:1]
	v_add_co_u32_e64 v13, s[0:1], 2, v8
	v_addc_co_u32_e64 v14, s[0:1], 0, v11, s[0:1]
	v_add_co_u32_e64 v15, s[0:1], 1, v8
	v_addc_co_u32_e64 v16, s[0:1], 0, v11, s[0:1]
	v_subb_co_u32_e32 v4, vcc, v10, v4, vcc
	v_cmp_ne_u32_e64 s[0:1], 0, v12
	v_cmp_le_u32_e32 vcc, s25, v4
	v_cndmask_b32_e64 v12, v16, v14, s[0:1]
	v_cndmask_b32_e64 v14, 0, -1, vcc
	v_cmp_le_u32_e32 vcc, s24, v3
	v_cndmask_b32_e64 v3, 0, -1, vcc
	v_cmp_eq_u32_e32 vcc, s25, v4
	v_cndmask_b32_e32 v3, v14, v3, vcc
	v_cmp_ne_u32_e32 vcc, 0, v3
	v_cndmask_b32_e64 v3, v15, v13, s[0:1]
	v_cndmask_b32_e32 v4, v11, v12, vcc
	v_cndmask_b32_e32 v3, v8, v3, vcc
.LBB0_4:                                ;   in Loop: Header=BB0_2 Depth=1
	s_andn2_saveexec_b64 s[0:1], s[26:27]
	s_cbranch_execz .LBB0_6
; %bb.5:                                ;   in Loop: Header=BB0_2 Depth=1
	v_cvt_f32_u32_e32 v3, s24
	s_sub_i32 s26, 0, s24
	v_rcp_iflag_f32_e32 v3, v3
	v_mul_f32_e32 v3, 0x4f7ffffe, v3
	v_cvt_u32_f32_e32 v3, v3
	v_mul_lo_u32 v4, s26, v3
	v_mul_hi_u32 v4, v3, v4
	v_add_u32_e32 v3, v3, v4
	v_mul_hi_u32 v3, v9, v3
	v_mul_lo_u32 v4, v3, s24
	v_add_u32_e32 v8, 1, v3
	v_sub_u32_e32 v4, v9, v4
	v_subrev_u32_e32 v11, s24, v4
	v_cmp_le_u32_e32 vcc, s24, v4
	v_cndmask_b32_e32 v4, v4, v11, vcc
	v_cndmask_b32_e32 v3, v3, v8, vcc
	v_add_u32_e32 v8, 1, v3
	v_cmp_le_u32_e32 vcc, s24, v4
	v_cndmask_b32_e32 v3, v3, v8, vcc
	v_mov_b32_e32 v4, v7
.LBB0_6:                                ;   in Loop: Header=BB0_2 Depth=1
	s_or_b64 exec, exec, s[0:1]
	v_mul_lo_u32 v8, v4, s24
	v_mul_lo_u32 v13, v3, s25
	v_mad_u64_u32 v[11:12], s[0:1], v3, s24, 0
	s_load_dwordx2 s[0:1], s[6:7], 0x0
	s_load_dwordx2 s[24:25], s[2:3], 0x0
	v_add3_u32 v8, v12, v13, v8
	v_sub_co_u32_e32 v9, vcc, v9, v11
	v_subb_co_u32_e32 v8, vcc, v10, v8, vcc
	s_waitcnt lgkmcnt(0)
	v_mul_lo_u32 v10, s0, v8
	v_mul_lo_u32 v11, s1, v9
	v_mad_u64_u32 v[5:6], s[0:1], s0, v9, v[5:6]
	v_mul_lo_u32 v8, s24, v8
	v_mul_lo_u32 v12, s25, v9
	v_mad_u64_u32 v[1:2], s[0:1], s24, v9, v[1:2]
	s_add_u32 s22, s22, 1
	s_addc_u32 s23, s23, 0
	s_add_u32 s2, s2, 8
	v_add3_u32 v2, v12, v2, v8
	s_addc_u32 s3, s3, 0
	v_mov_b32_e32 v8, s10
	s_add_u32 s6, s6, 8
	v_mov_b32_e32 v9, s11
	s_addc_u32 s7, s7, 0
	v_cmp_ge_u64_e32 vcc, s[22:23], v[8:9]
	s_add_u32 s20, s20, 8
	v_add3_u32 v6, v11, v6, v10
	s_addc_u32 s21, s21, 0
	s_cbranch_vccnz .LBB0_9
; %bb.7:                                ;   in Loop: Header=BB0_2 Depth=1
	v_mov_b32_e32 v10, v4
	v_mov_b32_e32 v9, v3
	s_branch .LBB0_2
.LBB0_8:
	v_mov_b32_e32 v1, v5
	v_mov_b32_e32 v3, v9
	;; [unrolled: 1-line block ×4, first 2 shown]
.LBB0_9:
	s_load_dwordx2 s[0:1], s[4:5], 0x28
	s_lshl_b64 s[6:7], s[10:11], 3
	s_add_u32 s2, s18, s6
	s_addc_u32 s3, s19, s7
                                        ; implicit-def: $vgpr7
	s_waitcnt lgkmcnt(0)
	v_cmp_gt_u64_e32 vcc, s[0:1], v[3:4]
	v_cmp_le_u64_e64 s[0:1], s[0:1], v[3:4]
	s_and_saveexec_b64 s[4:5], s[0:1]
	s_xor_b64 s[0:1], exec, s[4:5]
; %bb.10:
	s_mov_b32 s4, 0x1b4e81c
	v_mul_hi_u32 v5, v0, s4
	v_mul_u32_u24_e32 v5, 0x96, v5
	v_sub_u32_e32 v7, v0, v5
                                        ; implicit-def: $vgpr0
                                        ; implicit-def: $vgpr5_vgpr6
; %bb.11:
	s_or_saveexec_b64 s[4:5], s[0:1]
                                        ; implicit-def: $vgpr8
                                        ; implicit-def: $vgpr15
                                        ; implicit-def: $vgpr9
                                        ; implicit-def: $vgpr10
                                        ; implicit-def: $vgpr11
                                        ; implicit-def: $vgpr13
                                        ; implicit-def: $vgpr12
                                        ; implicit-def: $vgpr16
                                        ; implicit-def: $vgpr14
                                        ; implicit-def: $vgpr17
                                        ; implicit-def: $vgpr22
                                        ; implicit-def: $vgpr21
                                        ; implicit-def: $vgpr23
                                        ; implicit-def: $vgpr26
                                        ; implicit-def: $vgpr24
                                        ; implicit-def: $vgpr18
                                        ; implicit-def: $vgpr25
                                        ; implicit-def: $vgpr19
                                        ; implicit-def: $vgpr27
                                        ; implicit-def: $vgpr20
	s_xor_b64 exec, exec, s[4:5]
	s_cbranch_execz .LBB0_13
; %bb.12:
	s_add_u32 s0, s16, s6
	s_addc_u32 s1, s17, s7
	s_load_dwordx2 s[0:1], s[0:1], 0x0
	s_mov_b32 s6, 0x1b4e81c
	v_mul_hi_u32 v7, v0, s6
	v_lshlrev_b64 v[5:6], 2, v[5:6]
	s_waitcnt lgkmcnt(0)
	v_mul_lo_u32 v10, s1, v3
	v_mul_lo_u32 v11, s0, v4
	v_mad_u64_u32 v[8:9], s[0:1], s0, v3, 0
	v_mul_u32_u24_e32 v7, 0x96, v7
	v_sub_u32_e32 v7, v0, v7
	v_add3_u32 v9, v9, v11, v10
	v_lshlrev_b64 v[8:9], 2, v[8:9]
	v_mov_b32_e32 v0, s13
	v_add_co_u32_e64 v8, s[0:1], s12, v8
	v_addc_co_u32_e64 v0, s[0:1], v0, v9, s[0:1]
	v_add_co_u32_e64 v5, s[0:1], v8, v5
	v_addc_co_u32_e64 v0, s[0:1], v0, v6, s[0:1]
	v_lshlrev_b32_e32 v6, 2, v7
	v_add_co_u32_e64 v5, s[0:1], v5, v6
	v_addc_co_u32_e64 v6, s[0:1], 0, v0, s[0:1]
	s_movk_i32 s0, 0x1000
	v_add_co_u32_e64 v8, s[0:1], s0, v5
	v_addc_co_u32_e64 v9, s[0:1], 0, v6, s[0:1]
	global_load_dword v20, v[5:6], off
	global_load_dword v19, v[5:6], off offset:1200
	global_load_dword v18, v[5:6], off offset:2400
	;; [unrolled: 1-line block ×9, first 2 shown]
	s_waitcnt vmcnt(6)
	v_lshrrev_b32_e32 v22, 16, v21
	s_waitcnt vmcnt(5)
	v_lshrrev_b32_e32 v9, 16, v10
	;; [unrolled: 2-line block ×3, first 2 shown]
	v_lshrrev_b32_e32 v27, 16, v20
	v_lshrrev_b32_e32 v25, 16, v19
	;; [unrolled: 1-line block ×3, first 2 shown]
	s_waitcnt vmcnt(1)
	v_lshrrev_b32_e32 v14, 16, v17
	v_lshrrev_b32_e32 v12, 16, v16
	;; [unrolled: 1-line block ×3, first 2 shown]
	s_waitcnt vmcnt(0)
	v_lshrrev_b32_e32 v8, 16, v15
.LBB0_13:
	s_or_b64 exec, exec, s[4:5]
	v_add_f16_e32 v0, v26, v18
	v_sub_f16_e32 v5, v19, v18
	v_sub_f16_e32 v6, v21, v26
	v_fma_f16 v0, v0, -0.5, v20
	v_add_f16_e32 v5, v6, v5
	v_sub_f16_e32 v6, v25, v22
	s_mov_b32 s12, 0xbb9c
	s_movk_i32 s7, 0x3b9c
	s_mov_b32 s10, 0xb8b4
	v_fma_f16 v28, v6, s12, v0
	v_sub_f16_e32 v29, v24, v23
	v_fma_f16 v0, v6, s7, v0
	s_movk_i32 s6, 0x38b4
	v_fma_f16 v28, v29, s10, v28
	s_movk_i32 s11, 0x34f2
	v_fma_f16 v0, v29, s6, v0
	v_fma_f16 v28, v5, s11, v28
	;; [unrolled: 1-line block ×3, first 2 shown]
	v_sub_f16_e32 v0, v18, v19
	v_sub_f16_e32 v5, v26, v21
	v_add_f16_e32 v0, v5, v0
	v_add_f16_e32 v5, v21, v19
	v_fma_f16 v5, v5, -0.5, v20
	v_fma_f16 v31, v29, s7, v5
	v_fma_f16 v5, v29, s12, v5
	v_fma_f16 v29, v6, s10, v31
	v_fma_f16 v5, v6, s6, v5
	v_add_f16_e32 v6, v19, v20
	v_add_f16_e32 v6, v18, v6
	;; [unrolled: 1-line block ×4, first 2 shown]
	v_sub_f16_e32 v6, v19, v21
	v_sub_f16_e32 v19, v25, v24
	;; [unrolled: 1-line block ×3, first 2 shown]
	v_add_f16_e32 v19, v21, v19
	v_add_f16_e32 v21, v23, v24
	v_fma_f16 v21, v21, -0.5, v27
	v_sub_f16_e32 v18, v18, v26
	v_fma_f16 v26, v6, s7, v21
	v_fma_f16 v21, v6, s12, v21
	;; [unrolled: 1-line block ×6, first 2 shown]
	v_add_f16_e32 v21, v22, v25
	v_fma_f16 v21, v21, -0.5, v27
	v_add_f16_e32 v27, v25, v27
	v_add_f16_e32 v27, v24, v27
	v_sub_f16_e32 v24, v24, v25
	v_add_f16_e32 v25, v23, v27
	v_add_f16_e32 v25, v22, v25
	v_sub_f16_e32 v22, v23, v22
	v_fma_f16 v23, v18, s12, v21
	v_fma_f16 v18, v18, s7, v21
	v_add_f16_e32 v22, v22, v24
	v_fma_f16 v21, v6, s6, v23
	v_fma_f16 v6, v6, s10, v18
	;; [unrolled: 1-line block ×4, first 2 shown]
	v_sub_f16_e32 v6, v16, v13
	v_sub_f16_e32 v22, v15, v10
	v_add_f16_e32 v6, v22, v6
	v_add_f16_e32 v22, v10, v13
	v_fma_f16 v22, v22, -0.5, v17
	v_sub_f16_e32 v23, v12, v8
	v_fma_f16 v24, v23, s12, v22
	v_sub_f16_e32 v27, v11, v9
	v_fma_f16 v22, v23, s7, v22
	v_fma_f16 v24, v27, s10, v24
	;; [unrolled: 1-line block ×5, first 2 shown]
	v_sub_f16_e32 v6, v13, v16
	v_sub_f16_e32 v31, v10, v15
	v_add_f16_e32 v6, v31, v6
	v_add_f16_e32 v31, v15, v16
	v_fma_f16 v31, v31, -0.5, v17
	v_add_f16_e32 v17, v16, v17
	v_add_f16_e32 v17, v13, v17
	;; [unrolled: 1-line block ×4, first 2 shown]
	v_sub_f16_e32 v15, v16, v15
	v_sub_f16_e32 v10, v13, v10
	;; [unrolled: 1-line block ×4, first 2 shown]
	v_add_f16_e32 v13, v16, v13
	v_add_f16_e32 v16, v9, v11
	v_fma_f16 v32, v27, s7, v31
	v_fma_f16 v27, v27, s12, v31
	v_fma_f16 v16, v16, -0.5, v14
	v_fma_f16 v31, v23, s10, v32
	v_fma_f16 v23, v23, s6, v27
	;; [unrolled: 1-line block ×8, first 2 shown]
	v_add_f16_e32 v16, v8, v12
	v_fma_f16 v16, v16, -0.5, v14
	v_add_f16_e32 v14, v12, v14
	v_add_f16_e32 v14, v11, v14
	v_sub_f16_e32 v11, v11, v12
	v_add_f16_e32 v12, v9, v14
	v_add_f16_e32 v12, v8, v12
	v_sub_f16_e32 v8, v9, v8
	v_add_f16_e32 v8, v8, v11
	v_mul_f16_e32 v11, 0x34f2, v0
	v_pack_b32_f16 v5, v29, v5
	v_mul_f16_e32 v14, 0x34f2, v6
	v_mad_u32_u24 v0, v7, 10, 0
	v_pk_add_f16 v6, v11, v5 op_sel_hi:[0,1]
	v_pack_b32_f16 v5, v20, v28
	s_load_dwordx2 s[2:3], s[2:3], 0x0
	ds_write_b64 v0, v[5:6]
	ds_write_b16 v0, v30 offset:8
	v_pack_b32_f16 v5, v31, v23
	v_fma_f16 v9, v10, s12, v16
	v_fma_f16 v10, v10, s7, v16
	v_pk_add_f16 v6, v14, v5 op_sel_hi:[0,1]
	v_pack_b32_f16 v5, v17, v24
	v_fma_f16 v9, v15, s6, v9
	v_fma_f16 v10, v15, s10, v10
	ds_write_b64 v0, v[5:6] offset:1500
	ds_write_b16 v0, v22 offset:1508
	v_lshlrev_b32_e32 v5, 3, v7
	v_fma_f16 v15, v8, s11, v9
	v_fma_f16 v10, v8, s11, v10
	v_sub_u32_e32 v6, v0, v5
	v_pack_b32_f16 v9, v21, v18
	v_pack_b32_f16 v8, v25, v26
	s_waitcnt lgkmcnt(0)
	s_barrier
	ds_read_u16 v16, v6
	ds_read_u16 v17, v6 offset:300
	ds_read_u16 v20, v6 offset:600
	;; [unrolled: 1-line block ×9, first 2 shown]
	s_waitcnt lgkmcnt(0)
	s_barrier
	ds_write_b64 v0, v[8:9]
	ds_write_b16 v0, v19 offset:8
	v_pack_b32_f16 v9, v15, v10
	v_pack_b32_f16 v8, v12, v27
	s_movk_i32 s0, 0xcd
	ds_write_b64 v0, v[8:9] offset:1500
	ds_write_b16 v0, v13 offset:1508
	v_mul_lo_u16_sdwa v8, v7, s0 dst_sel:DWORD dst_unused:UNUSED_PAD src0_sel:BYTE_0 src1_sel:DWORD
	v_lshrrev_b16_e32 v18, 10, v8
	v_mul_lo_u16_e32 v8, 5, v18
	v_sub_u16_e32 v19, v7, v8
	v_mov_b32_e32 v21, 9
	v_mul_u32_u24_sdwa v8, v19, v21 dst_sel:DWORD dst_unused:UNUSED_PAD src0_sel:BYTE_0 src1_sel:DWORD
	v_lshlrev_b32_e32 v25, 2, v8
	s_waitcnt lgkmcnt(0)
	s_barrier
	global_load_dwordx4 v[8:11], v25, s[8:9]
	global_load_dwordx4 v[12:15], v25, s[8:9] offset:16
	global_load_dword v26, v25, s[8:9] offset:32
	ds_read_u16 v25, v6 offset:300
	ds_read_u16 v27, v6 offset:600
	;; [unrolled: 1-line block ×7, first 2 shown]
	ds_read_u16 v37, v6
	s_mov_b32 s1, 0xb4f2
	s_movk_i32 s0, 0x3a79
	s_mov_b32 s4, 0xba79
	v_mov_b32_e32 v42, 1
	v_mul_u32_u24_e32 v18, 0x64, v18
	v_lshlrev_b32_sdwa v19, v42, v19 dst_sel:DWORD dst_unused:UNUSED_PAD src0_sel:DWORD src1_sel:BYTE_0
	v_add3_u32 v18, 0, v18, v19
	v_sub_u32_e32 v5, 0, v5
	v_add_u32_e32 v5, v0, v5
	s_waitcnt vmcnt(2) lgkmcnt(7)
	v_mul_f16_sdwa v38, v25, v8 dst_sel:DWORD dst_unused:UNUSED_PAD src0_sel:DWORD src1_sel:WORD_1
	v_fma_f16 v38, v17, v8, v38
	v_mul_f16_sdwa v17, v17, v8 dst_sel:DWORD dst_unused:UNUSED_PAD src0_sel:DWORD src1_sel:WORD_1
	v_fma_f16 v8, v25, v8, -v17
	s_waitcnt lgkmcnt(6)
	v_mul_f16_sdwa v17, v27, v9 dst_sel:DWORD dst_unused:UNUSED_PAD src0_sel:DWORD src1_sel:WORD_1
	v_fma_f16 v17, v20, v9, v17
	v_mul_f16_sdwa v20, v20, v9 dst_sel:DWORD dst_unused:UNUSED_PAD src0_sel:DWORD src1_sel:WORD_1
	v_fma_f16 v9, v27, v9, -v20
	s_waitcnt lgkmcnt(5)
	;; [unrolled: 5-line block ×3, first 2 shown]
	v_mul_f16_sdwa v22, v33, v11 dst_sel:DWORD dst_unused:UNUSED_PAD src0_sel:DWORD src1_sel:WORD_1
	v_fma_f16 v22, v23, v11, v22
	v_mul_f16_sdwa v23, v23, v11 dst_sel:DWORD dst_unused:UNUSED_PAD src0_sel:DWORD src1_sel:WORD_1
	v_fma_f16 v11, v33, v11, -v23
	s_waitcnt vmcnt(1) lgkmcnt(3)
	v_mul_f16_sdwa v23, v34, v12 dst_sel:DWORD dst_unused:UNUSED_PAD src0_sel:DWORD src1_sel:WORD_1
	v_fma_f16 v23, v24, v12, v23
	v_mul_f16_sdwa v24, v24, v12 dst_sel:DWORD dst_unused:UNUSED_PAD src0_sel:DWORD src1_sel:WORD_1
	v_fma_f16 v12, v34, v12, -v24
	s_waitcnt lgkmcnt(2)
	v_mul_f16_sdwa v24, v35, v13 dst_sel:DWORD dst_unused:UNUSED_PAD src0_sel:DWORD src1_sel:WORD_1
	v_mul_f16_sdwa v25, v28, v13 dst_sel:DWORD dst_unused:UNUSED_PAD src0_sel:DWORD src1_sel:WORD_1
	ds_read_u16 v27, v6 offset:2400
	v_fma_f16 v24, v28, v13, v24
	v_fma_f16 v13, v35, v13, -v25
	s_waitcnt lgkmcnt(2)
	v_mul_f16_sdwa v25, v36, v14 dst_sel:DWORD dst_unused:UNUSED_PAD src0_sel:DWORD src1_sel:WORD_1
	v_mul_f16_sdwa v28, v29, v14 dst_sel:DWORD dst_unused:UNUSED_PAD src0_sel:DWORD src1_sel:WORD_1
	v_fma_f16 v25, v29, v14, v25
	v_fma_f16 v14, v36, v14, -v28
	ds_read_u16 v28, v6 offset:2700
	s_waitcnt lgkmcnt(1)
	v_mul_f16_sdwa v29, v27, v15 dst_sel:DWORD dst_unused:UNUSED_PAD src0_sel:DWORD src1_sel:WORD_1
	v_fma_f16 v29, v30, v15, v29
	v_mul_f16_sdwa v30, v30, v15 dst_sel:DWORD dst_unused:UNUSED_PAD src0_sel:DWORD src1_sel:WORD_1
	v_fma_f16 v15, v27, v15, -v30
	s_waitcnt vmcnt(0) lgkmcnt(0)
	v_mul_f16_sdwa v27, v28, v26 dst_sel:DWORD dst_unused:UNUSED_PAD src0_sel:DWORD src1_sel:WORD_1
	v_mul_f16_sdwa v30, v31, v26 dst_sel:DWORD dst_unused:UNUSED_PAD src0_sel:DWORD src1_sel:WORD_1
	v_fma_f16 v27, v31, v26, v27
	v_fma_f16 v26, v28, v26, -v30
	v_sub_f16_e32 v28, v17, v22
	v_sub_f16_e32 v30, v29, v24
	v_add_f16_e32 v28, v28, v30
	v_add_f16_e32 v30, v22, v24
	v_fma_f16 v30, v30, -0.5, v16
	v_sub_f16_e32 v31, v9, v15
	v_fma_f16 v32, v31, s12, v30
	v_sub_f16_e32 v33, v11, v13
	v_fma_f16 v30, v31, s7, v30
	v_fma_f16 v32, v33, s10, v32
	;; [unrolled: 1-line block ×5, first 2 shown]
	v_sub_f16_e32 v30, v22, v17
	v_sub_f16_e32 v34, v24, v29
	v_add_f16_e32 v30, v30, v34
	v_add_f16_e32 v34, v17, v29
	v_fma_f16 v34, v34, -0.5, v16
	v_add_f16_e32 v16, v16, v17
	v_add_f16_e32 v16, v16, v22
	;; [unrolled: 1-line block ×4, first 2 shown]
	v_sub_f16_e32 v17, v17, v29
	v_sub_f16_e32 v22, v22, v24
	;; [unrolled: 1-line block ×4, first 2 shown]
	v_fma_f16 v35, v33, s7, v34
	v_fma_f16 v33, v33, s12, v34
	v_add_f16_e32 v24, v24, v29
	v_add_f16_e32 v29, v11, v13
	v_fma_f16 v34, v31, s10, v35
	v_fma_f16 v31, v31, s6, v33
	v_fma_f16 v29, v29, -0.5, v37
	v_fma_f16 v33, v30, s11, v34
	v_fma_f16 v30, v30, s11, v31
	;; [unrolled: 1-line block ×6, first 2 shown]
	v_add_f16_e32 v34, v37, v9
	v_fma_f16 v31, v24, s11, v31
	v_fma_f16 v24, v24, s11, v29
	v_add_f16_e32 v29, v9, v15
	v_add_f16_e32 v34, v34, v11
	v_fma_f16 v29, v29, -0.5, v37
	v_sub_f16_e32 v9, v11, v9
	v_add_f16_e32 v11, v34, v13
	v_sub_f16_e32 v13, v13, v15
	v_add_f16_e32 v11, v11, v15
	v_add_f16_e32 v9, v9, v13
	v_fma_f16 v13, v22, s12, v29
	v_fma_f16 v15, v22, s7, v29
	;; [unrolled: 1-line block ×6, first 2 shown]
	v_sub_f16_e32 v15, v20, v23
	v_sub_f16_e32 v17, v27, v25
	v_add_f16_e32 v15, v15, v17
	v_add_f16_e32 v17, v23, v25
	v_fma_f16 v17, v17, -0.5, v38
	v_sub_f16_e32 v22, v10, v26
	v_fma_f16 v29, v22, s12, v17
	v_sub_f16_e32 v34, v12, v14
	v_fma_f16 v17, v22, s7, v17
	v_fma_f16 v29, v34, s10, v29
	v_fma_f16 v17, v34, s6, v17
	v_fma_f16 v29, v15, s11, v29
	v_fma_f16 v15, v15, s11, v17
	v_sub_f16_e32 v17, v23, v20
	v_sub_f16_e32 v35, v25, v27
	v_add_f16_e32 v17, v17, v35
	v_add_f16_e32 v35, v20, v27
	v_fma_f16 v35, v35, -0.5, v38
	v_fma_f16 v36, v34, s7, v35
	v_fma_f16 v34, v34, s12, v35
	;; [unrolled: 1-line block ×6, first 2 shown]
	v_add_f16_e32 v22, v38, v20
	v_add_f16_e32 v22, v22, v23
	;; [unrolled: 1-line block ×4, first 2 shown]
	v_sub_f16_e32 v20, v20, v27
	v_sub_f16_e32 v23, v23, v25
	;; [unrolled: 1-line block ×4, first 2 shown]
	v_add_f16_e32 v25, v25, v27
	v_add_f16_e32 v27, v12, v14
	v_fma_f16 v27, v27, -0.5, v8
	v_fma_f16 v35, v20, s7, v27
	v_fma_f16 v27, v20, s12, v27
	v_fma_f16 v35, v23, s6, v35
	v_fma_f16 v27, v23, s10, v27
	v_fma_f16 v35, v25, s11, v35
	v_fma_f16 v25, v25, s11, v27
	v_add_f16_e32 v27, v10, v26
	v_fma_f16 v27, v27, -0.5, v8
	v_add_f16_e32 v8, v8, v10
	v_add_f16_e32 v8, v8, v12
	v_sub_f16_e32 v10, v12, v10
	v_sub_f16_e32 v12, v14, v26
	v_add_f16_e32 v8, v8, v14
	v_add_f16_e32 v10, v10, v12
	v_fma_f16 v12, v23, s12, v27
	v_fma_f16 v14, v23, s7, v27
	;; [unrolled: 1-line block ×6, first 2 shown]
	v_add_f16_e32 v8, v8, v26
	v_mul_f16_e32 v26, 0xbb9c, v10
	v_mul_f16_e32 v10, 0xb4f2, v10
	;; [unrolled: 1-line block ×4, first 2 shown]
	v_fma_f16 v26, v17, s1, v26
	v_fma_f16 v10, v17, s7, v10
	v_mul_f16_e32 v17, 0xb8b4, v25
	v_fma_f16 v14, v29, s0, v14
	v_mul_f16_e32 v20, 0x3a79, v35
	;; [unrolled: 2-line block ×4, first 2 shown]
	v_fma_f16 v20, v29, s6, v20
	v_fma_f16 v12, v34, s7, v12
	;; [unrolled: 1-line block ×3, first 2 shown]
	v_add_f16_e32 v25, v16, v22
	v_sub_f16_e32 v16, v16, v22
	v_add_f16_e32 v22, v32, v14
	v_add_f16_e32 v27, v33, v23
	v_sub_f16_e32 v23, v33, v23
	v_add_f16_e32 v29, v30, v26
	v_sub_f16_e32 v26, v30, v26
	;; [unrolled: 2-line block ×4, first 2 shown]
	v_sub_f16_e32 v14, v32, v14
	v_add_f16_e32 v11, v31, v20
	v_sub_f16_e32 v20, v31, v20
	v_add_f16_e32 v31, v13, v12
	;; [unrolled: 2-line block ×4, first 2 shown]
	v_sub_f16_e32 v15, v24, v15
	s_barrier
	ds_write_b16 v18, v25
	ds_write_b16 v18, v22 offset:10
	ds_write_b16 v18, v27 offset:20
	;; [unrolled: 1-line block ×9, first 2 shown]
	s_waitcnt lgkmcnt(0)
	s_barrier
	ds_read_u16 v22, v6
	ds_read_u16 v23, v6 offset:300
	ds_read_u16 v24, v6 offset:600
	;; [unrolled: 1-line block ×9, first 2 shown]
	s_waitcnt lgkmcnt(0)
	s_barrier
	ds_write_b16 v18, v28
	ds_write_b16 v18, v11 offset:10
	ds_write_b16 v18, v31 offset:20
	ds_write_b16 v18, v13 offset:30
	ds_write_b16 v18, v10 offset:40
	ds_write_b16 v18, v8 offset:50
	ds_write_b16 v18, v20 offset:60
	ds_write_b16 v18, v12 offset:70
	ds_write_b16 v18, v9 offset:80
	ds_write_b16 v18, v15 offset:90
	v_mov_b32_e32 v8, 41
	v_mul_lo_u16_sdwa v8, v7, v8 dst_sel:DWORD dst_unused:UNUSED_PAD src0_sel:BYTE_0 src1_sel:DWORD
	v_lshrrev_b16_e32 v9, 11, v8
	v_mul_lo_u16_e32 v8, 50, v9
	v_sub_u16_e32 v10, v7, v8
	v_mul_u32_u24_sdwa v8, v10, v21 dst_sel:DWORD dst_unused:UNUSED_PAD src0_sel:BYTE_0 src1_sel:DWORD
	v_lshlrev_b32_e32 v8, 2, v8
	s_waitcnt lgkmcnt(0)
	s_barrier
	global_load_dwordx4 v[13:16], v8, s[8:9] offset:180
	global_load_dwordx4 v[17:20], v8, s[8:9] offset:196
	global_load_dword v21, v8, s[8:9] offset:212
	ds_read_u16 v8, v6 offset:300
	ds_read_u16 v28, v6 offset:600
	ds_read_u16 v29, v6 offset:900
	ds_read_u16 v31, v6 offset:1200
	ds_read_u16 v32, v6 offset:1500
	ds_read_u16 v37, v6 offset:1800
	ds_read_u16 v38, v6 offset:2100
	ds_read_u16 v12, v6
	v_lshlrev_b32_sdwa v10, v42, v10 dst_sel:DWORD dst_unused:UNUSED_PAD src0_sel:DWORD src1_sel:BYTE_0
	v_mul_u32_u24_e32 v9, 0x3e8, v9
	v_add3_u32 v42, 0, v9, v10
                                        ; implicit-def: $vgpr9
                                        ; implicit-def: $vgpr10
	s_waitcnt vmcnt(2) lgkmcnt(7)
	v_mul_f16_sdwa v11, v8, v13 dst_sel:DWORD dst_unused:UNUSED_PAD src0_sel:DWORD src1_sel:WORD_1
	v_fma_f16 v39, v23, v13, v11
	v_mul_f16_sdwa v11, v23, v13 dst_sel:DWORD dst_unused:UNUSED_PAD src0_sel:DWORD src1_sel:WORD_1
	v_fma_f16 v11, v8, v13, -v11
	s_waitcnt lgkmcnt(6)
	v_mul_f16_sdwa v8, v28, v14 dst_sel:DWORD dst_unused:UNUSED_PAD src0_sel:DWORD src1_sel:WORD_1
	v_fma_f16 v27, v24, v14, v8
	v_mul_f16_sdwa v8, v24, v14 dst_sel:DWORD dst_unused:UNUSED_PAD src0_sel:DWORD src1_sel:WORD_1
	v_fma_f16 v23, v28, v14, -v8
	v_mul_f16_sdwa v13, v25, v15 dst_sel:DWORD dst_unused:UNUSED_PAD src0_sel:DWORD src1_sel:WORD_1
	s_waitcnt lgkmcnt(4)
	v_mul_f16_sdwa v14, v31, v16 dst_sel:DWORD dst_unused:UNUSED_PAD src0_sel:DWORD src1_sel:WORD_1
	v_mul_f16_sdwa v8, v29, v15 dst_sel:DWORD dst_unused:UNUSED_PAD src0_sel:DWORD src1_sel:WORD_1
	v_fma_f16 v13, v29, v15, -v13
	v_fma_f16 v29, v26, v16, v14
	v_mul_f16_sdwa v14, v26, v16 dst_sel:DWORD dst_unused:UNUSED_PAD src0_sel:DWORD src1_sel:WORD_1
	v_fma_f16 v8, v25, v15, v8
	v_fma_f16 v25, v31, v16, -v14
	ds_read_u16 v16, v6 offset:2400
	s_waitcnt vmcnt(1) lgkmcnt(4)
	v_mul_f16_sdwa v14, v32, v17 dst_sel:DWORD dst_unused:UNUSED_PAD src0_sel:DWORD src1_sel:WORD_1
	v_mul_f16_sdwa v15, v30, v17 dst_sel:DWORD dst_unused:UNUSED_PAD src0_sel:DWORD src1_sel:WORD_1
	v_fma_f16 v14, v30, v17, v14
	v_fma_f16 v24, v32, v17, -v15
	v_mul_f16_sdwa v17, v34, v19 dst_sel:DWORD dst_unused:UNUSED_PAD src0_sel:DWORD src1_sel:WORD_1
	s_waitcnt lgkmcnt(3)
	v_mul_f16_sdwa v15, v37, v18 dst_sel:DWORD dst_unused:UNUSED_PAD src0_sel:DWORD src1_sel:WORD_1
	s_waitcnt lgkmcnt(2)
	v_fma_f16 v26, v38, v19, -v17
	ds_read_u16 v17, v6 offset:2700
	v_fma_f16 v32, v33, v18, v15
	v_mul_f16_sdwa v15, v33, v18 dst_sel:DWORD dst_unused:UNUSED_PAD src0_sel:DWORD src1_sel:WORD_1
	v_fma_f16 v28, v37, v18, -v15
	s_waitcnt lgkmcnt(1)
	v_mul_f16_sdwa v18, v16, v20 dst_sel:DWORD dst_unused:UNUSED_PAD src0_sel:DWORD src1_sel:WORD_1
	v_fma_f16 v33, v35, v20, v18
	v_mul_f16_sdwa v18, v35, v20 dst_sel:DWORD dst_unused:UNUSED_PAD src0_sel:DWORD src1_sel:WORD_1
	v_fma_f16 v31, v16, v20, -v18
	s_waitcnt vmcnt(0)
	v_mul_f16_sdwa v18, v36, v21 dst_sel:DWORD dst_unused:UNUSED_PAD src0_sel:DWORD src1_sel:WORD_1
	s_waitcnt lgkmcnt(0)
	v_mul_f16_sdwa v16, v17, v21 dst_sel:DWORD dst_unused:UNUSED_PAD src0_sel:DWORD src1_sel:WORD_1
	v_fma_f16 v30, v17, v21, -v18
	v_sub_f16_e32 v17, v27, v29
	v_sub_f16_e32 v18, v33, v32
	v_mul_f16_sdwa v15, v38, v19 dst_sel:DWORD dst_unused:UNUSED_PAD src0_sel:DWORD src1_sel:WORD_1
	v_add_f16_e32 v17, v17, v18
	v_add_f16_e32 v18, v29, v32
	v_fma_f16 v15, v34, v19, v15
	v_fma_f16 v18, v18, -0.5, v22
	v_sub_f16_e32 v19, v23, v31
	v_fma_f16 v16, v36, v21, v16
	v_fma_f16 v20, v19, s12, v18
	v_sub_f16_e32 v21, v25, v28
	v_fma_f16 v18, v19, s7, v18
	v_fma_f16 v20, v21, s10, v20
	;; [unrolled: 1-line block ×5, first 2 shown]
	v_sub_f16_e32 v18, v29, v27
	v_sub_f16_e32 v34, v32, v33
	v_add_f16_e32 v18, v18, v34
	v_add_f16_e32 v34, v27, v33
	v_fma_f16 v34, v34, -0.5, v22
	v_fma_f16 v35, v21, s7, v34
	v_fma_f16 v21, v21, s12, v34
	;; [unrolled: 1-line block ×6, first 2 shown]
	v_sub_f16_e32 v19, v8, v14
	v_sub_f16_e32 v34, v16, v15
	v_add_f16_e32 v19, v19, v34
	v_add_f16_e32 v34, v14, v15
	v_fma_f16 v34, v34, -0.5, v39
	v_sub_f16_e32 v36, v13, v30
	v_fma_f16 v35, v36, s12, v34
	v_sub_f16_e32 v37, v24, v26
	v_fma_f16 v34, v36, s7, v34
	v_fma_f16 v35, v37, s10, v35
	;; [unrolled: 1-line block ×5, first 2 shown]
	v_sub_f16_e32 v19, v14, v8
	v_sub_f16_e32 v38, v15, v16
	v_add_f16_e32 v19, v19, v38
	v_add_f16_e32 v38, v8, v16
	v_fma_f16 v38, v38, -0.5, v39
	v_fma_f16 v40, v37, s7, v38
	v_fma_f16 v37, v37, s12, v38
	;; [unrolled: 1-line block ×6, first 2 shown]
	v_add_f16_e32 v19, v39, v8
	v_add_f16_e32 v19, v19, v14
	;; [unrolled: 1-line block ×4, first 2 shown]
	v_sub_f16_e32 v8, v8, v16
	v_sub_f16_e32 v14, v14, v15
	;; [unrolled: 1-line block ×4, first 2 shown]
	v_add_f16_e32 v15, v15, v16
	v_add_f16_e32 v16, v24, v26
	v_fma_f16 v16, v16, -0.5, v11
	v_fma_f16 v38, v8, s7, v16
	v_fma_f16 v16, v8, s12, v16
	;; [unrolled: 1-line block ×6, first 2 shown]
	v_sub_f16_e32 v15, v24, v13
	v_sub_f16_e32 v16, v26, v30
	v_add_f16_e32 v15, v15, v16
	v_add_f16_e32 v16, v13, v30
	v_fma_f16 v16, v16, -0.5, v11
	v_fma_f16 v40, v14, s12, v16
	v_fma_f16 v14, v14, s7, v16
	;; [unrolled: 1-line block ×5, first 2 shown]
	v_add_f16_e32 v8, v22, v27
	v_add_f16_e32 v8, v8, v29
	;; [unrolled: 1-line block ×4, first 2 shown]
	v_fma_f16 v41, v15, s11, v16
	v_add_f16_e32 v14, v8, v19
	v_sub_f16_e32 v15, v8, v19
	v_mul_f16_e32 v8, 0xb8b4, v39
	v_fma_f16 v8, v35, s0, v8
	v_add_f16_e32 v16, v20, v8
	v_sub_f16_e32 v19, v20, v8
	v_mul_f16_e32 v8, 0xbb9c, v41
	;; [unrolled: 4-line block ×4, first 2 shown]
	v_fma_f16 v8, v34, s4, v8
	v_add_f16_e32 v43, v17, v8
	v_sub_f16_e32 v8, v17, v8
	s_barrier
	ds_write_b16 v42, v14
	ds_write_b16 v42, v16 offset:100
	ds_write_b16 v42, v20 offset:200
	;; [unrolled: 1-line block ×9, first 2 shown]
	s_waitcnt lgkmcnt(0)
	s_barrier
	ds_read_u16 v14, v6
	ds_read_u16 v15, v6 offset:300
	ds_read_u16 v18, v6 offset:2300
	;; [unrolled: 1-line block ×8, first 2 shown]
	v_cmp_gt_u32_e64 s[0:1], 50, v7
	s_and_saveexec_b64 s[4:5], s[0:1]
	s_cbranch_execz .LBB0_15
; %bb.14:
	ds_read_u16 v8, v5 offset:900
	ds_read_u16 v10, v5 offset:1900
	;; [unrolled: 1-line block ×3, first 2 shown]
.LBB0_15:
	s_or_b64 exec, exec, s[4:5]
	v_add_f16_e32 v6, v25, v28
	v_fma_f16 v6, v6, -0.5, v12
	v_sub_f16_e32 v27, v27, v33
	v_fma_f16 v33, v27, s7, v6
	v_sub_f16_e32 v29, v29, v32
	v_fma_f16 v32, v29, s6, v33
	v_sub_f16_e32 v33, v23, v25
	v_sub_f16_e32 v43, v31, v28
	v_fma_f16 v6, v27, s12, v6
	v_add_f16_e32 v33, v33, v43
	v_fma_f16 v6, v29, s10, v6
	v_fma_f16 v32, v33, s11, v32
	;; [unrolled: 1-line block ×3, first 2 shown]
	v_add_f16_e32 v33, v23, v31
	v_add_f16_e32 v0, v12, v23
	v_fma_f16 v12, v33, -0.5, v12
	v_add_f16_e32 v0, v0, v25
	v_fma_f16 v33, v29, s12, v12
	v_sub_f16_e32 v23, v25, v23
	v_sub_f16_e32 v25, v28, v31
	v_fma_f16 v12, v29, s7, v12
	v_add_f16_e32 v11, v11, v13
	v_fma_f16 v33, v27, s6, v33
	v_add_f16_e32 v23, v23, v25
	;; [unrolled: 2-line block ×3, first 2 shown]
	v_add_f16_e32 v0, v0, v28
	v_fma_f16 v25, v23, s11, v33
	v_fma_f16 v12, v23, s11, v12
	v_add_f16_e32 v11, v11, v26
	v_mul_f16_e32 v23, 0x3a79, v39
	v_mul_f16_e32 v26, 0x34f2, v41
	;; [unrolled: 1-line block ×3, first 2 shown]
	v_add_f16_e32 v0, v0, v31
	v_add_f16_e32 v11, v11, v30
	v_fma_f16 v23, v35, s6, v23
	v_fma_f16 v26, v37, s7, v26
	v_fma_f16 v28, v36, s7, -v28
	v_mul_f16_e32 v30, 0x3a79, v38
	v_add_f16_e32 v13, v0, v11
	v_add_f16_e32 v24, v32, v23
	;; [unrolled: 1-line block ×4, first 2 shown]
	v_fma_f16 v30, v34, s6, -v30
	v_sub_f16_e32 v0, v0, v11
	v_sub_f16_e32 v23, v32, v23
	;; [unrolled: 1-line block ×3, first 2 shown]
	v_add_f16_e32 v31, v6, v30
	v_sub_f16_e32 v12, v12, v28
	v_sub_f16_e32 v11, v6, v30
	s_waitcnt lgkmcnt(0)
	s_barrier
	ds_write_b16 v42, v13
	ds_write_b16 v42, v24 offset:100
	ds_write_b16 v42, v27 offset:200
	;; [unrolled: 1-line block ×9, first 2 shown]
	s_waitcnt lgkmcnt(0)
	s_barrier
	ds_read_u16 v0, v5
	ds_read_u16 v23, v5 offset:300
	ds_read_u16 v26, v5 offset:1300
	;; [unrolled: 1-line block ×8, first 2 shown]
                                        ; implicit-def: $vgpr12
                                        ; implicit-def: $vgpr13
	s_and_saveexec_b64 s[4:5], s[0:1]
	s_cbranch_execz .LBB0_17
; %bb.16:
	ds_read_u16 v11, v5 offset:900
	ds_read_u16 v13, v5 offset:1900
	;; [unrolled: 1-line block ×3, first 2 shown]
.LBB0_17:
	s_or_b64 exec, exec, s[4:5]
	s_and_saveexec_b64 s[4:5], vcc
	s_cbranch_execz .LBB0_20
; %bb.18:
	v_lshlrev_b32_e32 v31, 1, v7
	v_add_u32_e32 v5, 0x258, v31
	v_mov_b32_e32 v6, 0
	v_lshlrev_b64 v[32:33], 2, v[5:6]
	v_mov_b32_e32 v37, s9
	v_add_co_u32_e32 v32, vcc, s8, v32
	v_add_u32_e32 v5, 0x12c, v31
	v_addc_co_u32_e32 v33, vcc, v37, v33, vcc
	v_lshlrev_b64 v[35:36], 2, v[5:6]
	global_load_dwordx2 v[33:34], v[32:33], off offset:1980
	v_mov_b32_e32 v32, v6
	v_add_co_u32_e32 v35, vcc, s8, v35
	v_lshlrev_b64 v[31:32], 2, v[31:32]
	v_addc_co_u32_e32 v36, vcc, v37, v36, vcc
	v_add_co_u32_e32 v31, vcc, s8, v31
	global_load_dwordx2 v[35:36], v[35:36], off offset:1980
	v_addc_co_u32_e32 v32, vcc, v37, v32, vcc
	global_load_dwordx2 v[31:32], v[31:32], off offset:1980
	v_mul_lo_u32 v5, s3, v3
	v_mul_lo_u32 v37, s2, v4
	v_mad_u64_u32 v[3:4], s[2:3], s2, v3, 0
	s_mov_b32 s2, 0xbaee
	s_movk_i32 s3, 0x3aee
	v_add3_u32 v4, v4, v37, v5
	s_mov_b32 s4, 0x10624dd3
	v_lshlrev_b64 v[3:4], 2, v[3:4]
	s_movk_i32 s6, 0x5dc
	v_add_co_u32_e32 v3, vcc, s14, v3
	s_movk_i32 s5, 0x1f4
	s_waitcnt vmcnt(2)
	v_mul_f16_sdwa v5, v21, v33 dst_sel:DWORD dst_unused:UNUSED_PAD src0_sel:DWORD src1_sel:WORD_1
	v_mul_f16_sdwa v37, v22, v34 dst_sel:DWORD dst_unused:UNUSED_PAD src0_sel:DWORD src1_sel:WORD_1
	s_waitcnt lgkmcnt(3)
	v_mul_f16_sdwa v38, v29, v33 dst_sel:DWORD dst_unused:UNUSED_PAD src0_sel:DWORD src1_sel:WORD_1
	s_waitcnt lgkmcnt(0)
	v_mul_f16_sdwa v39, v30, v34 dst_sel:DWORD dst_unused:UNUSED_PAD src0_sel:DWORD src1_sel:WORD_1
	v_fma_f16 v5, v29, v33, -v5
	v_fma_f16 v29, v30, v34, -v37
	v_fma_f16 v21, v21, v33, v38
	v_fma_f16 v22, v22, v34, v39
	v_sub_f16_e32 v43, v21, v22
	s_waitcnt vmcnt(1)
	v_mul_f16_sdwa v30, v20, v35 dst_sel:DWORD dst_unused:UNUSED_PAD src0_sel:DWORD src1_sel:WORD_1
	v_mul_f16_sdwa v33, v18, v36 dst_sel:DWORD dst_unused:UNUSED_PAD src0_sel:DWORD src1_sel:WORD_1
	;; [unrolled: 1-line block ×4, first 2 shown]
	s_waitcnt vmcnt(0)
	v_mul_f16_sdwa v38, v19, v31 dst_sel:DWORD dst_unused:UNUSED_PAD src0_sel:DWORD src1_sel:WORD_1
	v_mul_f16_sdwa v39, v16, v32 dst_sel:DWORD dst_unused:UNUSED_PAD src0_sel:DWORD src1_sel:WORD_1
	;; [unrolled: 1-line block ×3, first 2 shown]
	v_add_f16_e32 v45, v21, v22
	v_add_f16_e32 v21, v17, v21
	v_fma_f16 v26, v26, v35, -v30
	v_fma_f16 v27, v27, v36, -v33
	v_mul_f16_sdwa v41, v24, v32 dst_sel:DWORD dst_unused:UNUSED_PAD src0_sel:DWORD src1_sel:WORD_1
	v_add_f16_e32 v42, v5, v29
	v_add_f16_e32 v44, v25, v5
	v_sub_f16_e32 v5, v5, v29
	v_fma_f16 v20, v20, v35, v34
	v_fma_f16 v18, v18, v36, v37
	v_fma_f16 v28, v28, v31, -v38
	v_fma_f16 v24, v24, v32, -v39
	v_fma_f16 v19, v19, v31, v40
	v_fma_f16 v17, v45, -0.5, v17
	v_add_f16_e32 v21, v21, v22
	v_add_f16_e32 v22, v26, v27
	;; [unrolled: 1-line block ×3, first 2 shown]
	v_fma_f16 v16, v16, v32, v41
	v_add_f16_e32 v32, v20, v18
	v_add_f16_e32 v33, v28, v24
	v_fma_f16 v38, v5, s3, v17
	v_fma_f16 v17, v5, s2, v17
	v_fma_f16 v5, v22, -0.5, v23
	v_add_f16_e32 v22, v31, v27
	v_mul_hi_u32 v31, v7, s4
	v_sub_f16_e32 v30, v20, v18
	v_sub_f16_e32 v26, v26, v27
	v_add_f16_e32 v20, v15, v20
	v_sub_f16_e32 v34, v19, v16
	v_add_f16_e32 v35, v0, v28
	v_add_f16_e32 v36, v19, v16
	v_fma_f16 v15, v32, -0.5, v15
	v_fma_f16 v0, v33, -0.5, v0
	v_add_f16_e32 v18, v20, v18
	v_add_f16_e32 v20, v35, v24
	v_fma_f16 v23, v30, s2, v5
	v_fma_f16 v27, v30, s3, v5
	;; [unrolled: 1-line block ×6, first 2 shown]
	v_fma_f16 v0, v36, -0.5, v14
	v_sub_f16_e32 v24, v28, v24
	v_fma_f16 v28, v24, s3, v0
	v_fma_f16 v24, v24, s2, v0
	v_add_f16_e32 v0, v14, v19
	v_add_f16_e32 v14, v0, v16
	v_lshrrev_b32_e32 v0, 5, v31
	v_mul_u32_u24_e32 v0, 0x1f4, v0
	v_sub_u32_e32 v16, v7, v0
	v_mov_b32_e32 v0, s15
	v_addc_co_u32_e32 v4, vcc, v0, v4, vcc
	v_lshlrev_b64 v[0:1], 2, v[1:2]
	v_add_f16_e32 v29, v44, v29
	v_add_co_u32_e32 v2, vcc, v3, v0
	v_addc_co_u32_e32 v3, vcc, v4, v1, vcc
	v_lshlrev_b32_e32 v0, 2, v16
	v_pack_b32_f16 v4, v14, v20
	v_add_u32_e32 v14, 0x96, v7
	v_add_co_u32_e32 v0, vcc, v2, v0
	v_mul_hi_u32 v16, v14, s4
	v_addc_co_u32_e32 v1, vcc, 0, v3, vcc
	global_store_dword v[0:1], v4, off
	v_pack_b32_f16 v4, v24, v26
	global_store_dword v[0:1], v4, off offset:2000
	v_pack_b32_f16 v4, v28, v5
	global_store_dword v[0:1], v4, off offset:4000
	v_lshrrev_b32_e32 v0, 5, v16
	v_mul_u32_u24_e32 v1, 0x1f4, v0
	v_sub_u32_e32 v1, v14, v1
	v_mad_u32_u24 v5, v0, s6, v1
	v_lshlrev_b64 v[0:1], 2, v[5:6]
	v_pack_b32_f16 v4, v18, v22
	v_add_co_u32_e32 v0, vcc, v2, v0
	v_addc_co_u32_e32 v1, vcc, v3, v1, vcc
	global_store_dword v[0:1], v4, off
	v_add_u32_e32 v0, 0x1f4, v5
	v_mov_b32_e32 v1, v6
	v_lshlrev_b64 v[0:1], 2, v[0:1]
	v_pack_b32_f16 v4, v15, v27
	v_add_co_u32_e32 v0, vcc, v2, v0
	v_addc_co_u32_e32 v1, vcc, v3, v1, vcc
	global_store_dword v[0:1], v4, off
	v_add_u32_e32 v5, 0x3e8, v5
	v_add_u32_e32 v4, 0x12c, v7
	v_lshlrev_b64 v[0:1], 2, v[5:6]
	v_mul_hi_u32 v5, v4, s4
	v_add_co_u32_e32 v0, vcc, v2, v0
	v_addc_co_u32_e32 v1, vcc, v3, v1, vcc
	v_pack_b32_f16 v14, v30, v23
	global_store_dword v[0:1], v14, off
	v_lshrrev_b32_e32 v0, 5, v5
	v_mul_u32_u24_e32 v1, 0x1f4, v0
	v_sub_u32_e32 v1, v4, v1
	v_mad_u32_u24 v5, v0, s6, v1
	v_lshlrev_b64 v[0:1], 2, v[5:6]
	v_pack_b32_f16 v4, v21, v29
	v_add_co_u32_e32 v0, vcc, v2, v0
	v_addc_co_u32_e32 v1, vcc, v3, v1, vcc
	global_store_dword v[0:1], v4, off
	v_add_u32_e32 v0, 0x1f4, v5
	v_mov_b32_e32 v1, v6
	v_lshlrev_b64 v[0:1], 2, v[0:1]
	v_fma_f16 v25, v42, -0.5, v25
	v_fma_f16 v37, v43, s2, v25
	v_fma_f16 v25, v43, s3, v25
	v_add_co_u32_e32 v0, vcc, v2, v0
	v_addc_co_u32_e32 v1, vcc, v3, v1, vcc
	v_pack_b32_f16 v4, v17, v25
	v_add_u32_e32 v5, 0x3e8, v5
	global_store_dword v[0:1], v4, off
	v_lshlrev_b64 v[0:1], 2, v[5:6]
	v_pack_b32_f16 v4, v38, v37
	v_add_co_u32_e32 v0, vcc, v2, v0
	v_addc_co_u32_e32 v1, vcc, v3, v1, vcc
	global_store_dword v[0:1], v4, off
	v_add_u32_e32 v0, 0x1c2, v7
	v_cmp_gt_u32_e32 vcc, s5, v0
	s_and_b64 exec, exec, vcc
	s_cbranch_execz .LBB0_20
; %bb.19:
	v_not_b32_e32 v1, 49
	v_mov_b32_e32 v4, 0x1c2
	v_cndmask_b32_e64 v1, v1, v4, s[0:1]
	v_add_lshl_u32 v5, v7, v1, 1
	v_lshlrev_b64 v[4:5], 2, v[5:6]
	v_mov_b32_e32 v1, s9
	v_add_co_u32_e32 v4, vcc, s8, v4
	v_addc_co_u32_e32 v5, vcc, v1, v5, vcc
	global_load_dwordx2 v[14:15], v[4:5], off offset:1980
	v_mov_b32_e32 v1, v6
	v_lshlrev_b64 v[0:1], 2, v[0:1]
	v_add_u32_e32 v5, 0x3b6, v7
	v_add_co_u32_e32 v0, vcc, v2, v0
	v_lshlrev_b64 v[16:17], 2, v[5:6]
	v_addc_co_u32_e32 v1, vcc, v3, v1, vcc
	v_add_u32_e32 v5, 0x5aa, v7
	v_lshlrev_b64 v[4:5], 2, v[5:6]
	v_add_co_u32_e32 v6, vcc, v2, v16
	v_addc_co_u32_e32 v7, vcc, v3, v17, vcc
	v_add_co_u32_e32 v2, vcc, v2, v4
	v_addc_co_u32_e32 v3, vcc, v3, v5, vcc
	s_waitcnt vmcnt(0)
	v_mul_f16_sdwa v4, v13, v14 dst_sel:DWORD dst_unused:UNUSED_PAD src0_sel:DWORD src1_sel:WORD_1
	v_mul_f16_sdwa v5, v10, v14 dst_sel:DWORD dst_unused:UNUSED_PAD src0_sel:DWORD src1_sel:WORD_1
	;; [unrolled: 1-line block ×4, first 2 shown]
	v_fma_f16 v4, v10, v14, v4
	v_fma_f16 v5, v13, v14, -v5
	v_fma_f16 v9, v9, v15, v16
	v_fma_f16 v10, v12, v15, -v17
	v_add_f16_e32 v12, v8, v4
	v_add_f16_e32 v13, v4, v9
	v_sub_f16_e32 v14, v5, v10
	v_add_f16_e32 v15, v11, v5
	v_add_f16_e32 v5, v5, v10
	v_sub_f16_e32 v4, v4, v9
	v_add_f16_e32 v9, v12, v9
	v_fma_f16 v8, v13, -0.5, v8
	v_add_f16_e32 v10, v15, v10
	v_fma_f16 v5, v5, -0.5, v11
	v_fma_f16 v11, v14, s2, v8
	v_fma_f16 v12, v4, s3, v5
	;; [unrolled: 1-line block ×3, first 2 shown]
	v_pack_b32_f16 v5, v9, v10
	v_fma_f16 v8, v14, s3, v8
	global_store_dword v[0:1], v5, off
	v_pack_b32_f16 v0, v11, v12
	v_pack_b32_f16 v1, v8, v4
	global_store_dword v[6:7], v0, off
	global_store_dword v[2:3], v1, off
.LBB0_20:
	s_endpgm
	.section	.rodata,"a",@progbits
	.p2align	6, 0x0
	.amdhsa_kernel fft_rtc_back_len1500_factors_5_10_10_3_wgs_150_tpt_150_halfLds_half_op_CI_CI_unitstride_sbrr_dirReg
		.amdhsa_group_segment_fixed_size 0
		.amdhsa_private_segment_fixed_size 0
		.amdhsa_kernarg_size 104
		.amdhsa_user_sgpr_count 6
		.amdhsa_user_sgpr_private_segment_buffer 1
		.amdhsa_user_sgpr_dispatch_ptr 0
		.amdhsa_user_sgpr_queue_ptr 0
		.amdhsa_user_sgpr_kernarg_segment_ptr 1
		.amdhsa_user_sgpr_dispatch_id 0
		.amdhsa_user_sgpr_flat_scratch_init 0
		.amdhsa_user_sgpr_private_segment_size 0
		.amdhsa_uses_dynamic_stack 0
		.amdhsa_system_sgpr_private_segment_wavefront_offset 0
		.amdhsa_system_sgpr_workgroup_id_x 1
		.amdhsa_system_sgpr_workgroup_id_y 0
		.amdhsa_system_sgpr_workgroup_id_z 0
		.amdhsa_system_sgpr_workgroup_info 0
		.amdhsa_system_vgpr_workitem_id 0
		.amdhsa_next_free_vgpr 46
		.amdhsa_next_free_sgpr 28
		.amdhsa_reserve_vcc 1
		.amdhsa_reserve_flat_scratch 0
		.amdhsa_float_round_mode_32 0
		.amdhsa_float_round_mode_16_64 0
		.amdhsa_float_denorm_mode_32 3
		.amdhsa_float_denorm_mode_16_64 3
		.amdhsa_dx10_clamp 1
		.amdhsa_ieee_mode 1
		.amdhsa_fp16_overflow 0
		.amdhsa_exception_fp_ieee_invalid_op 0
		.amdhsa_exception_fp_denorm_src 0
		.amdhsa_exception_fp_ieee_div_zero 0
		.amdhsa_exception_fp_ieee_overflow 0
		.amdhsa_exception_fp_ieee_underflow 0
		.amdhsa_exception_fp_ieee_inexact 0
		.amdhsa_exception_int_div_zero 0
	.end_amdhsa_kernel
	.text
.Lfunc_end0:
	.size	fft_rtc_back_len1500_factors_5_10_10_3_wgs_150_tpt_150_halfLds_half_op_CI_CI_unitstride_sbrr_dirReg, .Lfunc_end0-fft_rtc_back_len1500_factors_5_10_10_3_wgs_150_tpt_150_halfLds_half_op_CI_CI_unitstride_sbrr_dirReg
                                        ; -- End function
	.section	.AMDGPU.csdata,"",@progbits
; Kernel info:
; codeLenInByte = 7292
; NumSgprs: 32
; NumVgprs: 46
; ScratchSize: 0
; MemoryBound: 0
; FloatMode: 240
; IeeeMode: 1
; LDSByteSize: 0 bytes/workgroup (compile time only)
; SGPRBlocks: 3
; VGPRBlocks: 11
; NumSGPRsForWavesPerEU: 32
; NumVGPRsForWavesPerEU: 46
; Occupancy: 5
; WaveLimiterHint : 1
; COMPUTE_PGM_RSRC2:SCRATCH_EN: 0
; COMPUTE_PGM_RSRC2:USER_SGPR: 6
; COMPUTE_PGM_RSRC2:TRAP_HANDLER: 0
; COMPUTE_PGM_RSRC2:TGID_X_EN: 1
; COMPUTE_PGM_RSRC2:TGID_Y_EN: 0
; COMPUTE_PGM_RSRC2:TGID_Z_EN: 0
; COMPUTE_PGM_RSRC2:TIDIG_COMP_CNT: 0
	.type	__hip_cuid_4645dab5c6bdfe9e,@object ; @__hip_cuid_4645dab5c6bdfe9e
	.section	.bss,"aw",@nobits
	.globl	__hip_cuid_4645dab5c6bdfe9e
__hip_cuid_4645dab5c6bdfe9e:
	.byte	0                               ; 0x0
	.size	__hip_cuid_4645dab5c6bdfe9e, 1

	.ident	"AMD clang version 19.0.0git (https://github.com/RadeonOpenCompute/llvm-project roc-6.4.0 25133 c7fe45cf4b819c5991fe208aaa96edf142730f1d)"
	.section	".note.GNU-stack","",@progbits
	.addrsig
	.addrsig_sym __hip_cuid_4645dab5c6bdfe9e
	.amdgpu_metadata
---
amdhsa.kernels:
  - .args:
      - .actual_access:  read_only
        .address_space:  global
        .offset:         0
        .size:           8
        .value_kind:     global_buffer
      - .offset:         8
        .size:           8
        .value_kind:     by_value
      - .actual_access:  read_only
        .address_space:  global
        .offset:         16
        .size:           8
        .value_kind:     global_buffer
      - .actual_access:  read_only
        .address_space:  global
        .offset:         24
        .size:           8
        .value_kind:     global_buffer
      - .actual_access:  read_only
        .address_space:  global
        .offset:         32
        .size:           8
        .value_kind:     global_buffer
      - .offset:         40
        .size:           8
        .value_kind:     by_value
      - .actual_access:  read_only
        .address_space:  global
        .offset:         48
        .size:           8
        .value_kind:     global_buffer
      - .actual_access:  read_only
        .address_space:  global
        .offset:         56
        .size:           8
        .value_kind:     global_buffer
      - .offset:         64
        .size:           4
        .value_kind:     by_value
      - .actual_access:  read_only
        .address_space:  global
        .offset:         72
        .size:           8
        .value_kind:     global_buffer
      - .actual_access:  read_only
        .address_space:  global
        .offset:         80
        .size:           8
        .value_kind:     global_buffer
      - .actual_access:  read_only
        .address_space:  global
        .offset:         88
        .size:           8
        .value_kind:     global_buffer
      - .actual_access:  write_only
        .address_space:  global
        .offset:         96
        .size:           8
        .value_kind:     global_buffer
    .group_segment_fixed_size: 0
    .kernarg_segment_align: 8
    .kernarg_segment_size: 104
    .language:       OpenCL C
    .language_version:
      - 2
      - 0
    .max_flat_workgroup_size: 150
    .name:           fft_rtc_back_len1500_factors_5_10_10_3_wgs_150_tpt_150_halfLds_half_op_CI_CI_unitstride_sbrr_dirReg
    .private_segment_fixed_size: 0
    .sgpr_count:     32
    .sgpr_spill_count: 0
    .symbol:         fft_rtc_back_len1500_factors_5_10_10_3_wgs_150_tpt_150_halfLds_half_op_CI_CI_unitstride_sbrr_dirReg.kd
    .uniform_work_group_size: 1
    .uses_dynamic_stack: false
    .vgpr_count:     46
    .vgpr_spill_count: 0
    .wavefront_size: 64
amdhsa.target:   amdgcn-amd-amdhsa--gfx906
amdhsa.version:
  - 1
  - 2
...

	.end_amdgpu_metadata
